;; amdgpu-corpus repo=ROCm/rocFFT kind=compiled arch=gfx1030 opt=O3
	.text
	.amdgcn_target "amdgcn-amd-amdhsa--gfx1030"
	.amdhsa_code_object_version 6
	.protected	fft_rtc_fwd_len224_factors_7_2_2_2_2_2_wgs_64_tpt_16_halfLds_half_op_CI_CI_unitstride_sbrr_dirReg ; -- Begin function fft_rtc_fwd_len224_factors_7_2_2_2_2_2_wgs_64_tpt_16_halfLds_half_op_CI_CI_unitstride_sbrr_dirReg
	.globl	fft_rtc_fwd_len224_factors_7_2_2_2_2_2_wgs_64_tpt_16_halfLds_half_op_CI_CI_unitstride_sbrr_dirReg
	.p2align	8
	.type	fft_rtc_fwd_len224_factors_7_2_2_2_2_2_wgs_64_tpt_16_halfLds_half_op_CI_CI_unitstride_sbrr_dirReg,@function
fft_rtc_fwd_len224_factors_7_2_2_2_2_2_wgs_64_tpt_16_halfLds_half_op_CI_CI_unitstride_sbrr_dirReg: ; @fft_rtc_fwd_len224_factors_7_2_2_2_2_2_wgs_64_tpt_16_halfLds_half_op_CI_CI_unitstride_sbrr_dirReg
; %bb.0:
	s_clause 0x2
	s_load_dwordx4 s[12:15], s[4:5], 0x0
	s_load_dwordx4 s[8:11], s[4:5], 0x58
	;; [unrolled: 1-line block ×3, first 2 shown]
	v_lshrrev_b32_e32 v10, 4, v0
	v_mov_b32_e32 v3, 0
	v_mov_b32_e32 v18, 0
	;; [unrolled: 1-line block ×3, first 2 shown]
	v_lshl_or_b32 v7, s6, 2, v10
	v_mov_b32_e32 v8, v3
	s_waitcnt lgkmcnt(0)
	v_cmp_lt_u64_e64 s0, s[14:15], 2
	s_and_b32 vcc_lo, exec_lo, s0
	s_cbranch_vccnz .LBB0_8
; %bb.1:
	s_load_dwordx2 s[0:1], s[4:5], 0x10
	v_mov_b32_e32 v18, 0
	v_mov_b32_e32 v19, 0
	s_add_u32 s2, s18, 8
	s_addc_u32 s3, s19, 0
	v_mov_b32_e32 v1, v18
	s_add_u32 s6, s16, 8
	v_mov_b32_e32 v2, v19
	s_addc_u32 s7, s17, 0
	s_mov_b64 s[22:23], 1
	s_waitcnt lgkmcnt(0)
	s_add_u32 s20, s0, 8
	s_addc_u32 s21, s1, 0
.LBB0_2:                                ; =>This Inner Loop Header: Depth=1
	s_load_dwordx2 s[24:25], s[20:21], 0x0
                                        ; implicit-def: $vgpr5_vgpr6
	s_mov_b32 s0, exec_lo
	s_waitcnt lgkmcnt(0)
	v_or_b32_e32 v4, s25, v8
	v_cmpx_ne_u64_e32 0, v[3:4]
	s_xor_b32 s1, exec_lo, s0
	s_cbranch_execz .LBB0_4
; %bb.3:                                ;   in Loop: Header=BB0_2 Depth=1
	v_cvt_f32_u32_e32 v4, s24
	v_cvt_f32_u32_e32 v5, s25
	s_sub_u32 s0, 0, s24
	s_subb_u32 s26, 0, s25
	v_fmac_f32_e32 v4, 0x4f800000, v5
	v_rcp_f32_e32 v4, v4
	v_mul_f32_e32 v4, 0x5f7ffffc, v4
	v_mul_f32_e32 v5, 0x2f800000, v4
	v_trunc_f32_e32 v5, v5
	v_fmac_f32_e32 v4, 0xcf800000, v5
	v_cvt_u32_f32_e32 v5, v5
	v_cvt_u32_f32_e32 v4, v4
	v_mul_lo_u32 v6, s0, v5
	v_mul_hi_u32 v9, s0, v4
	v_mul_lo_u32 v11, s26, v4
	v_add_nc_u32_e32 v6, v9, v6
	v_mul_lo_u32 v9, s0, v4
	v_add_nc_u32_e32 v6, v6, v11
	v_mul_hi_u32 v11, v4, v9
	v_mul_lo_u32 v12, v4, v6
	v_mul_hi_u32 v13, v4, v6
	v_mul_hi_u32 v14, v5, v9
	v_mul_lo_u32 v9, v5, v9
	v_mul_hi_u32 v15, v5, v6
	v_mul_lo_u32 v6, v5, v6
	v_add_co_u32 v11, vcc_lo, v11, v12
	v_add_co_ci_u32_e32 v12, vcc_lo, 0, v13, vcc_lo
	v_add_co_u32 v9, vcc_lo, v11, v9
	v_add_co_ci_u32_e32 v9, vcc_lo, v12, v14, vcc_lo
	v_add_co_ci_u32_e32 v11, vcc_lo, 0, v15, vcc_lo
	v_add_co_u32 v6, vcc_lo, v9, v6
	v_add_co_ci_u32_e32 v9, vcc_lo, 0, v11, vcc_lo
	v_add_co_u32 v4, vcc_lo, v4, v6
	v_add_co_ci_u32_e32 v5, vcc_lo, v5, v9, vcc_lo
	v_mul_hi_u32 v6, s0, v4
	v_mul_lo_u32 v11, s26, v4
	v_mul_lo_u32 v9, s0, v5
	v_add_nc_u32_e32 v6, v6, v9
	v_mul_lo_u32 v9, s0, v4
	v_add_nc_u32_e32 v6, v6, v11
	v_mul_hi_u32 v11, v4, v9
	v_mul_lo_u32 v12, v4, v6
	v_mul_hi_u32 v13, v4, v6
	v_mul_hi_u32 v14, v5, v9
	v_mul_lo_u32 v9, v5, v9
	v_mul_hi_u32 v15, v5, v6
	v_mul_lo_u32 v6, v5, v6
	v_add_co_u32 v11, vcc_lo, v11, v12
	v_add_co_ci_u32_e32 v12, vcc_lo, 0, v13, vcc_lo
	v_add_co_u32 v9, vcc_lo, v11, v9
	v_add_co_ci_u32_e32 v9, vcc_lo, v12, v14, vcc_lo
	v_add_co_ci_u32_e32 v11, vcc_lo, 0, v15, vcc_lo
	v_add_co_u32 v6, vcc_lo, v9, v6
	v_add_co_ci_u32_e32 v9, vcc_lo, 0, v11, vcc_lo
	v_add_co_u32 v6, vcc_lo, v4, v6
	v_add_co_ci_u32_e32 v9, vcc_lo, v5, v9, vcc_lo
	v_mul_hi_u32 v15, v7, v6
	v_mad_u64_u32 v[11:12], null, v8, v6, 0
	v_mad_u64_u32 v[4:5], null, v7, v9, 0
	;; [unrolled: 1-line block ×3, first 2 shown]
	v_add_co_u32 v4, vcc_lo, v15, v4
	v_add_co_ci_u32_e32 v5, vcc_lo, 0, v5, vcc_lo
	v_add_co_u32 v4, vcc_lo, v4, v11
	v_add_co_ci_u32_e32 v4, vcc_lo, v5, v12, vcc_lo
	v_add_co_ci_u32_e32 v5, vcc_lo, 0, v14, vcc_lo
	v_add_co_u32 v9, vcc_lo, v4, v13
	v_add_co_ci_u32_e32 v6, vcc_lo, 0, v5, vcc_lo
	v_mul_lo_u32 v11, s25, v9
	v_mad_u64_u32 v[4:5], null, s24, v9, 0
	v_mul_lo_u32 v12, s24, v6
	v_sub_co_u32 v4, vcc_lo, v7, v4
	v_add3_u32 v5, v5, v12, v11
	v_sub_nc_u32_e32 v11, v8, v5
	v_subrev_co_ci_u32_e64 v11, s0, s25, v11, vcc_lo
	v_add_co_u32 v12, s0, v9, 2
	v_add_co_ci_u32_e64 v13, s0, 0, v6, s0
	v_sub_co_u32 v14, s0, v4, s24
	v_sub_co_ci_u32_e32 v5, vcc_lo, v8, v5, vcc_lo
	v_subrev_co_ci_u32_e64 v11, s0, 0, v11, s0
	v_cmp_le_u32_e32 vcc_lo, s24, v14
	v_cmp_eq_u32_e64 s0, s25, v5
	v_cndmask_b32_e64 v14, 0, -1, vcc_lo
	v_cmp_le_u32_e32 vcc_lo, s25, v11
	v_cndmask_b32_e64 v15, 0, -1, vcc_lo
	v_cmp_le_u32_e32 vcc_lo, s24, v4
	;; [unrolled: 2-line block ×3, first 2 shown]
	v_cndmask_b32_e64 v16, 0, -1, vcc_lo
	v_cmp_eq_u32_e32 vcc_lo, s25, v11
	v_cndmask_b32_e64 v4, v16, v4, s0
	v_cndmask_b32_e32 v11, v15, v14, vcc_lo
	v_add_co_u32 v14, vcc_lo, v9, 1
	v_add_co_ci_u32_e32 v15, vcc_lo, 0, v6, vcc_lo
	v_cmp_ne_u32_e32 vcc_lo, 0, v11
	v_cndmask_b32_e32 v5, v15, v13, vcc_lo
	v_cndmask_b32_e32 v11, v14, v12, vcc_lo
	v_cmp_ne_u32_e32 vcc_lo, 0, v4
	v_cndmask_b32_e32 v6, v6, v5, vcc_lo
	v_cndmask_b32_e32 v5, v9, v11, vcc_lo
.LBB0_4:                                ;   in Loop: Header=BB0_2 Depth=1
	s_andn2_saveexec_b32 s0, s1
	s_cbranch_execz .LBB0_6
; %bb.5:                                ;   in Loop: Header=BB0_2 Depth=1
	v_cvt_f32_u32_e32 v4, s24
	s_sub_i32 s1, 0, s24
	v_rcp_iflag_f32_e32 v4, v4
	v_mul_f32_e32 v4, 0x4f7ffffe, v4
	v_cvt_u32_f32_e32 v4, v4
	v_mul_lo_u32 v5, s1, v4
	v_mul_hi_u32 v5, v4, v5
	v_add_nc_u32_e32 v4, v4, v5
	v_mul_hi_u32 v4, v7, v4
	v_mul_lo_u32 v5, v4, s24
	v_add_nc_u32_e32 v6, 1, v4
	v_sub_nc_u32_e32 v5, v7, v5
	v_subrev_nc_u32_e32 v9, s24, v5
	v_cmp_le_u32_e32 vcc_lo, s24, v5
	v_cndmask_b32_e32 v5, v5, v9, vcc_lo
	v_cndmask_b32_e32 v4, v4, v6, vcc_lo
	v_cmp_le_u32_e32 vcc_lo, s24, v5
	v_add_nc_u32_e32 v6, 1, v4
	v_cndmask_b32_e32 v5, v4, v6, vcc_lo
	v_mov_b32_e32 v6, v3
.LBB0_6:                                ;   in Loop: Header=BB0_2 Depth=1
	s_or_b32 exec_lo, exec_lo, s0
	v_mul_lo_u32 v4, v6, s24
	v_mul_lo_u32 v9, v5, s25
	s_load_dwordx2 s[0:1], s[6:7], 0x0
	v_mad_u64_u32 v[11:12], null, v5, s24, 0
	s_load_dwordx2 s[24:25], s[2:3], 0x0
	s_add_u32 s22, s22, 1
	s_addc_u32 s23, s23, 0
	s_add_u32 s2, s2, 8
	s_addc_u32 s3, s3, 0
	s_add_u32 s6, s6, 8
	v_add3_u32 v4, v12, v9, v4
	v_sub_co_u32 v7, vcc_lo, v7, v11
	s_addc_u32 s7, s7, 0
	s_add_u32 s20, s20, 8
	v_sub_co_ci_u32_e32 v4, vcc_lo, v8, v4, vcc_lo
	s_addc_u32 s21, s21, 0
	s_waitcnt lgkmcnt(0)
	v_mul_lo_u32 v8, s0, v4
	v_mul_lo_u32 v9, s1, v7
	v_mad_u64_u32 v[18:19], null, s0, v7, v[18:19]
	v_mul_lo_u32 v4, s24, v4
	v_mul_lo_u32 v11, s25, v7
	v_mad_u64_u32 v[1:2], null, s24, v7, v[1:2]
	v_cmp_ge_u64_e64 s0, s[22:23], s[14:15]
	v_add3_u32 v19, v9, v19, v8
	v_add3_u32 v2, v11, v2, v4
	s_and_b32 vcc_lo, exec_lo, s0
	s_cbranch_vccnz .LBB0_9
; %bb.7:                                ;   in Loop: Header=BB0_2 Depth=1
	v_mov_b32_e32 v8, v6
	v_mov_b32_e32 v7, v5
	s_branch .LBB0_2
.LBB0_8:
	v_mov_b32_e32 v1, v18
	v_mov_b32_e32 v5, v7
	;; [unrolled: 1-line block ×4, first 2 shown]
.LBB0_9:
	s_load_dwordx2 s[0:1], s[4:5], 0x28
	s_lshl_b64 s[4:5], s[14:15], 3
	v_and_b32_e32 v3, 15, v0
	s_add_u32 s2, s18, s4
	s_addc_u32 s3, s19, s5
                                        ; implicit-def: $sgpr6
                                        ; implicit-def: $vgpr16
                                        ; implicit-def: $vgpr14
                                        ; implicit-def: $vgpr7
                                        ; implicit-def: $vgpr9
                                        ; implicit-def: $vgpr11
                                        ; implicit-def: $vgpr13
	s_waitcnt lgkmcnt(0)
	v_cmp_gt_u64_e32 vcc_lo, s[0:1], v[5:6]
	v_cmp_le_u64_e64 s0, s[0:1], v[5:6]
	s_and_saveexec_b32 s1, s0
	s_xor_b32 s0, exec_lo, s1
; %bb.10:
	v_and_b32_e32 v3, 15, v0
	v_mov_b32_e32 v4, 0
	s_mov_b32 s6, 0
                                        ; implicit-def: $vgpr18_vgpr19
	v_or_b32_e32 v16, 16, v3
	v_or_b32_e32 v14, 32, v3
	;; [unrolled: 1-line block ×6, first 2 shown]
	v_mov_b32_e32 v17, v4
	v_mov_b32_e32 v15, v4
; %bb.11:
	s_or_saveexec_b32 s1, s0
	v_mov_b32_e32 v25, s6
	v_mov_b32_e32 v24, s6
	v_mov_b32_e32 v12, s6
	v_mov_b32_e32 v0, s6
	v_mov_b32_e32 v21, s6
	v_mov_b32_e32 v20, s6
	v_mov_b32_e32 v26, s6
	v_mov_b32_e32 v27, s6
                                        ; implicit-def: $vgpr32
                                        ; implicit-def: $vgpr8
                                        ; implicit-def: $vgpr29
                                        ; implicit-def: $vgpr28
                                        ; implicit-def: $vgpr22
                                        ; implicit-def: $vgpr23
                                        ; implicit-def: $vgpr30
                                        ; implicit-def: $vgpr31
	s_xor_b32 exec_lo, exec_lo, s1
	s_cbranch_execz .LBB0_13
; %bb.12:
	s_add_u32 s4, s16, s4
	s_addc_u32 s5, s17, s5
	v_lshlrev_b64 v[11:12], 2, v[18:19]
	s_load_dwordx2 s[4:5], s[4:5], 0x0
	v_or_b32_e32 v9, 64, v3
	v_or_b32_e32 v16, 16, v3
	s_waitcnt lgkmcnt(0)
	v_mul_lo_u32 v0, s5, v5
	v_mul_lo_u32 v4, s4, v6
	v_mad_u64_u32 v[7:8], null, s4, v5, 0
	v_add3_u32 v8, v8, v4, v0
	v_lshlrev_b64 v[7:8], 2, v[7:8]
	v_add_co_u32 v0, s0, s8, v7
	v_add_co_ci_u32_e64 v4, s0, s9, v8, s0
	v_lshlrev_b32_e32 v7, 2, v3
	v_add_co_u32 v0, s0, v0, v11
	v_add_co_ci_u32_e64 v4, s0, v4, v12, s0
	v_or_b32_e32 v11, 0x50, v3
	v_add_co_u32 v13, s0, v0, v7
	v_add_co_ci_u32_e64 v14, s0, 0, v4, s0
	v_mov_b32_e32 v4, 0
	s_clause 0xd
	global_load_dword v24, v[13:14], off
	global_load_dword v18, v[13:14], off offset:640
	global_load_dword v28, v[13:14], off offset:832
	;; [unrolled: 1-line block ×13, first 2 shown]
	v_or_b32_e32 v14, 32, v3
	v_or_b32_e32 v13, 0x60, v3
	;; [unrolled: 1-line block ×3, first 2 shown]
	v_mov_b32_e32 v15, v4
	v_mov_b32_e32 v17, v4
	s_waitcnt vmcnt(12)
	v_lshrrev_b32_e32 v32, 16, v18
	s_waitcnt vmcnt(9)
	v_lshrrev_b32_e32 v29, 16, v19
	s_waitcnt vmcnt(8)
	v_perm_b32 v22, v19, v23, 0x5040100
	v_perm_b32 v23, v28, v23, 0x7060302
	s_waitcnt vmcnt(6)
	v_perm_b32 v30, v18, v31, 0x5040100
	v_perm_b32 v31, v8, v31, 0x7060302
.LBB0_13:
	s_or_b32 exec_lo, exec_lo, s1
	s_waitcnt vmcnt(2)
	v_add_f16_e32 v18, v8, v25
	v_sub_f16_e32 v19, v25, v8
	v_add_f16_sdwa v33, v32, v27 dst_sel:DWORD dst_unused:UNUSED_PAD src0_sel:DWORD src1_sel:WORD_1
	v_sub_f16_sdwa v32, v27, v32 dst_sel:DWORD dst_unused:UNUSED_PAD src0_sel:WORD_1 src1_sel:DWORD
	v_perm_b32 v27, v27, v26, 0x5040100
	v_perm_b32 v25, v25, v26, 0x7060302
	v_mul_u32_u24_e32 v10, 0xe0, v10
	s_load_dwordx2 s[2:3], s[2:3], 0x0
	v_add_f16_e32 v34, v28, v12
	v_pk_add_f16 v26, v30, v27
	v_pk_add_f16 v36, v31, v25
	v_pk_add_f16 v27, v27, v30 neg_lo:[0,1] neg_hi:[0,1]
	v_pk_add_f16 v25, v25, v31 neg_lo:[0,1] neg_hi:[0,1]
	v_lshlrev_b32_e32 v8, 1, v10
	v_add_f16_sdwa v30, v18, v26 dst_sel:DWORD dst_unused:UNUSED_PAD src0_sel:DWORD src1_sel:WORD_1
	v_alignbit_b32 v31, v18, v26, 16
	v_add_f16_sdwa v37, v36, v33 dst_sel:DWORD dst_unused:UNUSED_PAD src0_sel:WORD_1 src1_sel:DWORD
	v_sub_f16_e32 v18, v18, v26
	v_pack_b32_f16 v40, v32, v25
	v_add_f16_sdwa v41, v27, v27 dst_sel:DWORD dst_unused:UNUSED_PAD src0_sel:WORD_1 src1_sel:DWORD
	v_pk_add_f16 v31, v26, v31 neg_lo:[0,1] neg_hi:[0,1]
	v_add_f16_e32 v26, v30, v26
	v_add_f16_e32 v30, v37, v36
	v_sub_f16_sdwa v38, v33, v36 dst_sel:DWORD dst_unused:UNUSED_PAD src0_sel:DWORD src1_sel:WORD_1
	v_sub_f16_sdwa v39, v36, v36 dst_sel:DWORD dst_unused:UNUSED_PAD src0_sel:WORD_1 src1_sel:DWORD
	v_sub_f16_e32 v33, v36, v33
	v_add_f16_e32 v42, v32, v25
	v_sub_f16_sdwa v43, v27, v27 dst_sel:DWORD dst_unused:UNUSED_PAD src0_sel:DWORD src1_sel:WORD_1
	v_sub_f16_e32 v44, v19, v27
	v_pk_add_f16 v40, v25, v40 neg_lo:[0,1] neg_hi:[0,1]
	v_sub_f16_sdwa v27, v27, v19 dst_sel:DWORD dst_unused:UNUSED_PAD src0_sel:WORD_1 src1_sel:DWORD
	v_sub_f16_sdwa v32, v32, v25 dst_sel:DWORD dst_unused:UNUSED_PAD src0_sel:DWORD src1_sel:WORD_1
	v_add_f16_e32 v19, v19, v41
	v_add_f16_e32 v36, v26, v24
	v_add_f16_sdwa v47, v30, v24 dst_sel:DWORD dst_unused:UNUSED_PAD src0_sel:DWORD src1_sel:WORD_1
	v_mul_f16_e32 v24, 0xba52, v18
	v_pk_mul_f16 v41, 0x39e02b26, v31
	v_add_f16_sdwa v25, v25, v42 dst_sel:DWORD dst_unused:UNUSED_PAD src0_sel:WORD_1 src1_sel:DWORD
	v_mul_f16_e32 v37, 0x3a52, v39
	v_mul_f16_e32 v33, 0x2b26, v33
	v_pk_mul_f16 v45, 0x3574b846, v40
	v_mul_f16_e32 v32, 0x3b00, v32
	v_alignbit_b32 v24, v24, v41, 16
	v_mul_f16_e32 v42, 0x370e, v25
	v_mul_f16_e32 v43, 0xb846, v43
	;; [unrolled: 1-line block ×3, first 2 shown]
	v_fmamk_f16 v26, v26, 0xbcab, v36
	v_fmamk_f16 v18, v18, 0x3a52, v41
	;; [unrolled: 1-line block ×3, first 2 shown]
	v_fma_f16 v33, v38, 0x39e0, -v33
	v_pk_fma_f16 v24, 0x39e02b26, v31, v24 neg_lo:[0,1,0] neg_hi:[0,1,0]
	v_fma_f16 v31, v38, 0xb9e0, -v37
	v_add_f16_sdwa v38, v45, v45 dst_sel:DWORD dst_unused:UNUSED_PAD src0_sel:WORD_1 src1_sel:DWORD
	v_pk_fma_f16 v32, 0x3574b846, v40, v32 op_sel_hi:[1,1,0] neg_lo:[0,1,0] neg_hi:[0,1,1]
	v_fmamk_f16 v30, v30, 0xbcab, v47
	v_fmamk_f16 v37, v44, 0x3574, v43
	v_fma_f16 v27, v27, 0x3b00, -v43
	v_fma_f16 v41, v44, 0xb574, -v46
	v_add_f16_e32 v18, v18, v26
	v_pk_add_f16 v24, v24, v26 op_sel_hi:[1,0]
	v_fmac_f16_e32 v38, 0x370e, v25
	v_pk_add_f16 v25, v32, v42 op_sel_hi:[1,0]
	v_add_nc_u32_e32 v10, 0, v8
	v_add_f16_e32 v39, v39, v30
	v_add_f16_e32 v33, v33, v30
	;; [unrolled: 1-line block ×3, first 2 shown]
	v_fmac_f16_e32 v37, 0x370e, v19
	v_fmac_f16_e32 v27, 0x370e, v19
	;; [unrolled: 1-line block ×3, first 2 shown]
	v_add_f16_e32 v19, v18, v38
	v_pk_add_f16 v30, v24, v25
	v_pk_add_f16 v24, v24, v25 neg_lo:[0,1] neg_hi:[0,1]
	v_mad_u32_u24 v50, v3, 14, v10
	v_sub_f16_e32 v32, v26, v41
	v_add_f16_e32 v49, v41, v26
	v_sub_f16_e32 v18, v18, v38
	v_bfi_b32 v26, 0xffff, v30, v24
	v_alignbit_b32 v25, v24, v30, 16
	v_pack_b32_f16 v24, v36, v19
	s_waitcnt vmcnt(0)
	v_perm_b32 v19, v20, v21, 0x5040100
	v_sub_f16_e32 v28, v12, v28
	v_perm_b32 v12, v12, v21, 0x7060302
	ds_write_b96 v50, v[24:26]
	ds_write_b16 v50, v18 offset:12
	v_pk_add_f16 v18, v22, v19
	v_add_f16_sdwa v35, v29, v20 dst_sel:DWORD dst_unused:UNUSED_PAD src0_sel:DWORD src1_sel:WORD_1
	v_sub_f16_sdwa v29, v20, v29 dst_sel:DWORD dst_unused:UNUSED_PAD src0_sel:WORD_1 src1_sel:DWORD
	v_pk_add_f16 v20, v23, v12
	v_pk_add_f16 v19, v19, v22 neg_lo:[0,1] neg_hi:[0,1]
	v_pk_add_f16 v12, v12, v23 neg_lo:[0,1] neg_hi:[0,1]
	v_alignbit_b32 v22, v34, v18, 16
	v_add_f16_sdwa v21, v34, v18 dst_sel:DWORD dst_unused:UNUSED_PAD src0_sel:DWORD src1_sel:WORD_1
	v_add_f16_sdwa v23, v20, v35 dst_sel:DWORD dst_unused:UNUSED_PAD src0_sel:WORD_1 src1_sel:DWORD
	v_sub_f16_e32 v25, v34, v18
	v_pack_b32_f16 v30, v29, v12
	v_pk_add_f16 v22, v18, v22 neg_lo:[0,1] neg_hi:[0,1]
	v_add_f16_e32 v48, v27, v33
	v_sub_f16_e32 v33, v33, v27
	v_sub_f16_sdwa v24, v35, v20 dst_sel:DWORD dst_unused:UNUSED_PAD src0_sel:DWORD src1_sel:WORD_1
	v_sub_f16_sdwa v26, v20, v20 dst_sel:DWORD dst_unused:UNUSED_PAD src0_sel:WORD_1 src1_sel:DWORD
	v_sub_f16_e32 v27, v20, v35
	v_add_f16_sdwa v34, v19, v19 dst_sel:DWORD dst_unused:UNUSED_PAD src0_sel:WORD_1 src1_sel:DWORD
	v_add_f16_e32 v35, v29, v12
	v_sub_f16_sdwa v36, v19, v19 dst_sel:DWORD dst_unused:UNUSED_PAD src0_sel:DWORD src1_sel:WORD_1
	v_pk_add_f16 v30, v12, v30 neg_lo:[0,1] neg_hi:[0,1]
	v_add_f16_e32 v18, v21, v18
	v_add_f16_e32 v20, v23, v20
	v_sub_f16_sdwa v21, v29, v12 dst_sel:DWORD dst_unused:UNUSED_PAD src0_sel:DWORD src1_sel:WORD_1
	v_pk_mul_f16 v29, 0x39e02b26, v22
	v_mul_f16_e32 v38, 0xba52, v25
	v_sub_f16_e32 v31, v39, v37
	v_add_f16_e32 v51, v37, v39
	v_sub_f16_e32 v37, v28, v19
	v_sub_f16_sdwa v19, v19, v28 dst_sel:DWORD dst_unused:UNUSED_PAD src0_sel:WORD_1 src1_sel:DWORD
	v_add_f16_e32 v23, v28, v34
	v_add_f16_sdwa v12, v12, v35 dst_sel:DWORD dst_unused:UNUSED_PAD src0_sel:WORD_1 src1_sel:DWORD
	v_add_f16_e32 v28, v18, v0
	v_add_f16_sdwa v34, v20, v0 dst_sel:DWORD dst_unused:UNUSED_PAD src0_sel:DWORD src1_sel:WORD_1
	v_mul_f16_e32 v0, 0x3a52, v26
	v_mul_f16_e32 v27, 0x2b26, v27
	;; [unrolled: 1-line block ×3, first 2 shown]
	v_pk_mul_f16 v39, 0x3574b846, v30
	v_mul_f16_e32 v21, 0x3b00, v21
	v_alignbit_b32 v38, v38, v29, 16
	v_mul_f16_e32 v35, 0x370e, v12
	v_mul_f16_e32 v40, 0x3b00, v19
	v_fmamk_f16 v18, v18, 0xbcab, v28
	v_fmamk_f16 v25, v25, 0x3a52, v29
	v_fmamk_f16 v26, v26, 0x3a52, v27
	v_fma_f16 v27, v24, 0x39e0, -v27
	v_pk_fma_f16 v22, 0x39e02b26, v22, v38 neg_lo:[0,1,0] neg_hi:[0,1,0]
	v_fma_f16 v0, v24, 0xb9e0, -v0
	v_fmamk_f16 v24, v37, 0x3574, v36
	v_add_f16_sdwa v29, v39, v39 dst_sel:DWORD dst_unused:UNUSED_PAD src0_sel:WORD_1 src1_sel:DWORD
	v_fma_f16 v36, v19, 0x3b00, -v36
	v_pk_fma_f16 v19, 0x3574b846, v30, v21 op_sel_hi:[1,1,0] neg_lo:[0,1,0] neg_hi:[0,1,1]
	v_add_f16_e32 v21, v25, v18
	v_pk_add_f16 v18, v22, v18 op_sel_hi:[1,0]
	v_fmac_f16_e32 v29, 0x370e, v12
	v_fmamk_f16 v20, v20, 0xbcab, v34
	v_pk_add_f16 v19, v19, v35 op_sel_hi:[1,0]
	v_mad_i32_i24 v52, v16, 14, v10
	v_fma_f16 v37, v37, 0xb574, -v40
	v_add_f16_e32 v22, v21, v29
	v_add_f16_e32 v25, v26, v20
	v_pk_add_f16 v12, v18, v19
	v_pk_add_f16 v18, v18, v19 neg_lo:[0,1] neg_hi:[0,1]
	v_add_f16_e32 v26, v27, v20
	v_add_f16_e32 v0, v0, v20
	v_fmac_f16_e32 v36, 0x370e, v23
	v_fmac_f16_e32 v37, 0x370e, v23
	v_bfi_b32 v20, 0xffff, v12, v18
	v_alignbit_b32 v19, v18, v12, 16
	v_pack_b32_f16 v18, v28, v22
	v_sub_f16_e32 v22, v26, v36
	v_add_f16_e32 v55, v37, v0
	v_fmac_f16_e32 v24, 0x370e, v23
	v_pack_b32_f16 v33, v33, v49
	ds_write_b96 v52, v[18:20]
	v_and_b32_e32 v18, 0xff, v3
	v_pack_b32_f16 v49, v22, v55
	v_sub_f16_e32 v23, v25, v24
	v_lshlrev_b32_e32 v12, 1, v3
	v_sub_f16_e32 v53, v0, v37
	v_mul_lo_u16 v18, v18, 37
	v_add_f16_e32 v54, v36, v26
	v_sub_f16_e32 v21, v21, v29
	v_add_f16_e32 v56, v24, v25
	v_add_nc_u32_e32 v0, v10, v12
	v_lshrrev_b16 v20, 8, v18
	v_and_b32_e32 v18, 0xff, v16
	v_mad_i32_i24 v25, v16, -12, v52
	v_pack_b32_f16 v32, v32, v48
	v_pack_b32_f16 v31, v47, v31
	v_sub_nc_u16 v58, v3, v20
	v_mul_lo_u16 v57, v18, 37
	v_pack_b32_f16 v47, v34, v23
	v_mad_i32_i24 v24, v3, -12, v50
	v_lshl_add_u32 v26, v14, 1, v10
	v_lshrrev_b16 v58, 1, v58
	v_lshrrev_b16 v57, 8, v57
	v_pack_b32_f16 v48, v53, v54
	v_lshl_add_u32 v27, v7, 1, v10
	v_lshl_add_u32 v28, v9, 1, v10
	v_and_b32_e32 v55, 0x7f, v58
	v_sub_nc_u16 v22, v16, v57
	v_lshl_add_u32 v29, v11, 1, v10
	ds_write_b16 v52, v21 offset:12
	s_waitcnt lgkmcnt(0)
	v_add_nc_u16 v23, v55, v20
	v_lshrrev_b16 v22, 1, v22
	v_and_b32_e32 v20, 0xff, v14
	s_barrier
	buffer_gl0_inv
	v_lshl_add_u32 v30, v13, 1, v10
	v_and_b32_e32 v22, 0x7f, v22
	ds_read_u16 v36, v25
	ds_read_u16 v37, v26
	;; [unrolled: 1-line block ×7, first 2 shown]
	ds_read_u16 v46, v24 offset:224
	ds_read_u16 v45, v24 offset:256
	;; [unrolled: 1-line block ×7, first 2 shown]
	s_waitcnt lgkmcnt(0)
	s_barrier
	buffer_gl0_inv
	ds_write_b96 v50, v[31:33]
	ds_write_b16 v50, v51 offset:12
	ds_write_b96 v52, v[47:49]
	v_lshrrev_b16 v47, 2, v23
	v_mul_lo_u16 v23, v20, 37
	v_add_nc_u16 v22, v22, v57
	v_and_b32_e32 v32, 0xff, v9
	ds_write_b16 v52, v56 offset:12
	v_mul_lo_u16 v31, v47, 7
	v_lshrrev_b16 v48, 8, v23
	v_and_b32_e32 v23, 0xff, v7
	v_lshrrev_b16 v49, 2, v22
	v_mul_lo_u16 v53, v32, 37
	v_sub_nc_u16 v50, v3, v31
	v_sub_nc_u16 v31, v14, v48
	v_mul_lo_u16 v33, v23, 37
	v_mul_lo_u16 v34, v49, 7
	v_lshrrev_b16 v53, 8, v53
	v_mov_b32_e32 v22, 2
	v_lshrrev_b16 v31, 1, v31
	v_lshrrev_b16 v52, 8, v33
	v_and_b32_e32 v33, 0xff, v11
	v_sub_nc_u16 v54, v16, v34
	v_and_b32_e32 v34, 0xff, v13
	v_and_b32_e32 v31, 0x7f, v31
	v_sub_nc_u16 v55, v7, v52
	v_mul_lo_u16 v56, v33, 37
	v_sub_nc_u16 v58, v9, v53
	v_mul_lo_u16 v57, v34, 37
	v_add_nc_u16 v31, v31, v48
	v_lshrrev_b16 v55, 1, v55
	v_lshrrev_b16 v56, 8, v56
	v_lshlrev_b32_sdwa v51, v22, v50 dst_sel:DWORD dst_unused:UNUSED_PAD src0_sel:DWORD src1_sel:BYTE_0
	v_lshrrev_b16 v48, 8, v57
	v_lshrrev_b16 v57, 1, v58
	v_and_b32_e32 v55, 0x7f, v55
	v_sub_nc_u16 v58, v11, v56
	v_lshrrev_b16 v59, 2, v31
	v_sub_nc_u16 v31, v13, v48
	s_waitcnt lgkmcnt(0)
	v_add_nc_u16 v52, v55, v52
	v_and_b32_e32 v55, 0x7f, v57
	v_lshrrev_b16 v57, 1, v58
	v_lshrrev_b16 v31, 1, v31
	s_barrier
	v_lshrrev_b16 v52, 2, v52
	v_add_nc_u16 v53, v55, v53
	v_and_b32_e32 v57, 0x7f, v57
	v_and_b32_e32 v31, 0x7f, v31
	v_mul_lo_u16 v55, v59, 7
	v_mul_lo_u16 v60, v52, 7
	v_lshrrev_b16 v53, 2, v53
	v_add_nc_u16 v56, v57, v56
	v_add_nc_u16 v31, v31, v48
	v_sub_nc_u16 v48, v14, v55
	v_sub_nc_u16 v55, v7, v60
	v_mul_lo_u16 v57, v53, 7
	v_lshrrev_b16 v56, 2, v56
	v_lshrrev_b16 v60, 2, v31
	buffer_gl0_inv
	v_lshlrev_b32_sdwa v58, v22, v54 dst_sel:DWORD dst_unused:UNUSED_PAD src0_sel:DWORD src1_sel:BYTE_0
	global_load_dword v51, v51, s[12:13]
	v_mul_lo_u16 v61, v56, 7
	v_lshlrev_b32_sdwa v31, v22, v48 dst_sel:DWORD dst_unused:UNUSED_PAD src0_sel:DWORD src1_sel:BYTE_0
	v_sub_nc_u16 v57, v9, v57
	v_mul_lo_u16 v62, v60, 7
	v_lshlrev_b32_sdwa v63, v22, v55 dst_sel:DWORD dst_unused:UNUSED_PAD src0_sel:DWORD src1_sel:BYTE_0
	v_sub_nc_u16 v61, v11, v61
	global_load_dword v58, v58, s[12:13]
	v_and_b32_e32 v47, 0xffff, v47
	v_sub_nc_u16 v62, v13, v62
	s_clause 0x1
	global_load_dword v63, v63, s[12:13]
	global_load_dword v64, v31, s[12:13]
	v_lshlrev_b32_sdwa v31, v22, v57 dst_sel:DWORD dst_unused:UNUSED_PAD src0_sel:DWORD src1_sel:BYTE_0
	v_lshlrev_b32_sdwa v65, v22, v61 dst_sel:DWORD dst_unused:UNUSED_PAD src0_sel:DWORD src1_sel:BYTE_0
	v_and_b32_e32 v49, 0xffff, v49
	v_mad_u32_u24 v47, v47, 28, 0
	v_and_b32_e32 v59, 0xffff, v59
	global_load_dword v66, v31, s[12:13]
	v_lshlrev_b32_sdwa v31, v22, v62 dst_sel:DWORD dst_unused:UNUSED_PAD src0_sel:DWORD src1_sel:BYTE_0
	s_clause 0x1
	global_load_dword v65, v65, s[12:13]
	global_load_dword v67, v31, s[12:13]
	ds_read_u16 v68, v24 offset:224
	v_mov_b32_e32 v31, 1
	ds_read_u16 v69, v24 offset:256
	ds_read_u16 v70, v24 offset:288
	;; [unrolled: 1-line block ×6, first 2 shown]
	v_and_b32_e32 v56, 0xffff, v56
	v_mad_u32_u24 v49, v49, 28, 0
	v_mad_u32_u24 v59, v59, 28, 0
	v_lshlrev_b32_sdwa v50, v31, v50 dst_sel:DWORD dst_unused:UNUSED_PAD src0_sel:DWORD src1_sel:BYTE_0
	v_lshlrev_b32_sdwa v54, v31, v54 dst_sel:DWORD dst_unused:UNUSED_PAD src0_sel:DWORD src1_sel:BYTE_0
	;; [unrolled: 1-line block ×3, first 2 shown]
	v_and_b32_e32 v52, 0xffff, v52
	v_and_b32_e32 v53, 0xffff, v53
	v_add3_u32 v50, v47, v50, v8
	v_and_b32_e32 v60, 0xffff, v60
	v_mad_u32_u24 v56, v56, 28, 0
	v_lshlrev_b32_sdwa v61, v31, v61 dst_sel:DWORD dst_unused:UNUSED_PAD src0_sel:DWORD src1_sel:BYTE_0
	v_add3_u32 v49, v49, v54, v8
	ds_read_u16 v75, v0
	v_add3_u32 v59, v59, v48, v8
	v_mad_u32_u24 v52, v52, 28, 0
	v_mad_u32_u24 v53, v53, 28, 0
	;; [unrolled: 1-line block ×3, first 2 shown]
	v_lshlrev_b32_sdwa v55, v31, v55 dst_sel:DWORD dst_unused:UNUSED_PAD src0_sel:DWORD src1_sel:BYTE_0
	v_lshlrev_b32_sdwa v57, v31, v57 dst_sel:DWORD dst_unused:UNUSED_PAD src0_sel:DWORD src1_sel:BYTE_0
	;; [unrolled: 1-line block ×3, first 2 shown]
	v_add3_u32 v56, v56, v61, v8
	v_cmp_gt_u32_e64 s0, 14, v3
	v_add3_u32 v52, v52, v55, v8
	v_add3_u32 v53, v53, v57, v8
	;; [unrolled: 1-line block ×4, first 2 shown]
	s_waitcnt vmcnt(6) lgkmcnt(7)
	v_mul_f16_sdwa v47, v68, v51 dst_sel:DWORD dst_unused:UNUSED_PAD src0_sel:DWORD src1_sel:WORD_1
	v_mul_f16_sdwa v54, v46, v51 dst_sel:DWORD dst_unused:UNUSED_PAD src0_sel:DWORD src1_sel:WORD_1
	v_fma_f16 v46, v46, v51, -v47
	v_fmac_f16_e32 v54, v68, v51
	s_waitcnt vmcnt(5) lgkmcnt(6)
	v_mul_f16_sdwa v47, v69, v58 dst_sel:DWORD dst_unused:UNUSED_PAD src0_sel:DWORD src1_sel:WORD_1
	v_mul_f16_sdwa v48, v45, v58 dst_sel:DWORD dst_unused:UNUSED_PAD src0_sel:DWORD src1_sel:WORD_1
	ds_read_u16 v51, v25
	ds_read_u16 v55, v26
	;; [unrolled: 1-line block ×6, first 2 shown]
	s_waitcnt vmcnt(4) lgkmcnt(10)
	v_mul_f16_sdwa v61, v71, v63 dst_sel:DWORD dst_unused:UNUSED_PAD src0_sel:DWORD src1_sel:WORD_1
	v_mul_f16_sdwa v62, v43, v63 dst_sel:DWORD dst_unused:UNUSED_PAD src0_sel:DWORD src1_sel:WORD_1
	v_fma_f16 v45, v45, v58, -v47
	s_waitcnt vmcnt(3)
	v_mul_f16_sdwa v47, v70, v64 dst_sel:DWORD dst_unused:UNUSED_PAD src0_sel:DWORD src1_sel:WORD_1
	v_fmac_f16_e32 v48, v69, v58
	v_mul_f16_sdwa v58, v44, v64 dst_sel:DWORD dst_unused:UNUSED_PAD src0_sel:DWORD src1_sel:WORD_1
	v_fma_f16 v43, v43, v63, -v61
	v_fmac_f16_e32 v62, v71, v63
	v_fma_f16 v44, v44, v64, -v47
	s_waitcnt vmcnt(2) lgkmcnt(9)
	v_mul_f16_sdwa v47, v72, v66 dst_sel:DWORD dst_unused:UNUSED_PAD src0_sel:DWORD src1_sel:WORD_1
	v_fmac_f16_e32 v58, v70, v64
	s_waitcnt vmcnt(1) lgkmcnt(8)
	v_mul_f16_sdwa v61, v73, v65 dst_sel:DWORD dst_unused:UNUSED_PAD src0_sel:DWORD src1_sel:WORD_1
	s_waitcnt vmcnt(0) lgkmcnt(7)
	v_mul_f16_sdwa v69, v74, v67 dst_sel:DWORD dst_unused:UNUSED_PAD src0_sel:DWORD src1_sel:WORD_1
	v_mul_f16_sdwa v70, v40, v67 dst_sel:DWORD dst_unused:UNUSED_PAD src0_sel:DWORD src1_sel:WORD_1
	;; [unrolled: 1-line block ×4, first 2 shown]
	v_fma_f16 v42, v42, v66, -v47
	v_fma_f16 v40, v40, v67, -v69
	;; [unrolled: 1-line block ×3, first 2 shown]
	v_sub_f16_e32 v46, v39, v46
	v_sub_f16_e32 v45, v36, v45
	;; [unrolled: 1-line block ×7, first 2 shown]
	v_fma_f16 v39, v39, 2.0, -v46
	v_fma_f16 v36, v36, 2.0, -v45
	;; [unrolled: 1-line block ×3, first 2 shown]
	s_waitcnt lgkmcnt(6)
	v_sub_f16_e32 v54, v75, v54
	v_fma_f16 v19, v19, 2.0, -v40
	s_waitcnt lgkmcnt(0)
	s_barrier
	buffer_gl0_inv
	ds_write_b16 v50, v46 offset:14
	v_fma_f16 v38, v38, 2.0, -v43
	v_fma_f16 v21, v21, 2.0, -v42
	;; [unrolled: 1-line block ×3, first 2 shown]
	ds_write_b16 v50, v39
	ds_write_b16 v49, v36
	ds_write_b16 v49, v45 offset:14
	ds_write_b16 v59, v37
	ds_write_b16 v59, v44 offset:14
	;; [unrolled: 2-line block ×6, first 2 shown]
	v_sub_f16_e32 v19, v51, v48
	v_fma_f16 v61, v75, 2.0, -v54
	v_fmac_f16_e32 v64, v72, v66
	s_waitcnt lgkmcnt(0)
	s_barrier
	v_fma_f16 v51, v51, 2.0, -v19
	buffer_gl0_inv
	ds_read_u16 v35, v25
	ds_read_u16 v36, v26
	;; [unrolled: 1-line block ×7, first 2 shown]
	ds_read_u16 v48, v24 offset:224
	ds_read_u16 v47, v24 offset:256
	;; [unrolled: 1-line block ×7, first 2 shown]
	s_waitcnt lgkmcnt(0)
	v_sub_f16_e32 v21, v55, v58
	s_barrier
	buffer_gl0_inv
	ds_write_b16 v50, v61
	ds_write_b16 v50, v54 offset:14
	ds_write_b16 v49, v51
	ds_write_b16 v49, v19 offset:14
	v_sub_f16_e32 v19, v57, v62
	v_fmac_f16_e32 v63, v73, v65
	v_fma_f16 v55, v55, 2.0, -v21
	v_sub_f16_e32 v49, v68, v64
	v_fmac_f16_e32 v70, v74, v67
	v_fma_f16 v51, v57, 2.0, -v19
	v_sub_f16_e32 v50, v76, v63
	ds_write_b16 v59, v55
	ds_write_b16 v59, v21 offset:14
	v_fma_f16 v21, v68, 2.0, -v49
	ds_write_b16 v52, v51
	ds_write_b16 v52, v19 offset:14
	v_add_nc_u32_e32 v19, -14, v3
	v_sub_f16_e32 v54, v77, v70
	v_fma_f16 v55, v76, 2.0, -v50
	ds_write_b16 v53, v21
	v_lshrrev_b16 v21, 1, v18
	v_cndmask_b32_e64 v18, v19, v3, s0
	v_mov_b32_e32 v19, 0
	v_fma_f16 v57, v77, 2.0, -v54
	ds_write_b16 v53, v49 offset:14
	ds_write_b16 v56, v55
	ds_write_b16 v56, v50 offset:14
	ds_write_b16 v60, v57
	v_lshlrev_b64 v[50:51], 2, v[18:19]
	v_mul_lo_u16 v21, 0x93, v21
	v_lshrrev_b16 v52, 1, v20
	ds_write_b16 v60, v54 offset:14
	s_waitcnt lgkmcnt(0)
	s_barrier
	v_add_co_u32 v20, s0, s12, v50
	v_lshrrev_b16 v49, 10, v21
	v_add_co_ci_u32_e64 v21, s0, s13, v51, s0
	v_mul_lo_u16 v51, 0x93, v52
	buffer_gl0_inv
	v_mul_lo_u16 v50, v49, 14
	global_load_dword v52, v[20:21], off offset:28
	v_lshrrev_b16 v53, 1, v33
	v_lshrrev_b16 v51, 10, v51
	v_add_nc_u32_e32 v68, -12, v3
	v_sub_nc_u16 v50, v16, v50
	v_cmp_gt_u32_e64 s0, 28, v16
	v_mul_lo_u16 v53, 0x93, v53
	v_mul_lo_u16 v21, v51, 14
	v_lshrrev_b16 v33, 2, v33
	v_lshlrev_b32_sdwa v20, v22, v50 dst_sel:DWORD dst_unused:UNUSED_PAD src0_sel:DWORD src1_sel:BYTE_0
	v_lshlrev_b32_sdwa v50, v31, v50 dst_sel:DWORD dst_unused:UNUSED_PAD src0_sel:DWORD src1_sel:BYTE_0
	v_lshrrev_b16 v64, 10, v53
	v_sub_nc_u16 v55, v14, v21
	v_lshrrev_b16 v21, 1, v32
	global_load_dword v65, v20, s[12:13] offset:28
	v_mul_lo_u16 v33, v33, 37
	v_lshlrev_b32_sdwa v20, v22, v55 dst_sel:DWORD dst_unused:UNUSED_PAD src0_sel:DWORD src1_sel:BYTE_0
	v_mul_lo_u16 v21, 0x93, v21
	v_lshlrev_b32_sdwa v55, v31, v55 dst_sel:DWORD dst_unused:UNUSED_PAD src0_sel:DWORD src1_sel:BYTE_0
	global_load_dword v67, v20, s[12:13] offset:28
	v_lshrrev_b16 v20, 1, v23
	v_lshrrev_b16 v63, 10, v21
	;; [unrolled: 1-line block ×3, first 2 shown]
	v_mul_lo_u16 v20, 0x93, v20
	v_mul_lo_u16 v53, v63, 14
	v_mul_lo_u16 v23, v23, 37
	v_lshrrev_b16 v61, 10, v20
	v_lshrrev_b16 v20, 1, v34
	v_sub_nc_u16 v59, v9, v53
	v_mul_lo_u16 v21, v61, 14
	v_mul_lo_u16 v20, 0x93, v20
	v_sub_nc_u16 v58, v7, v21
	v_lshrrev_b16 v66, 10, v20
	v_mul_lo_u16 v20, v64, 14
	v_lshlrev_b32_sdwa v21, v22, v58 dst_sel:DWORD dst_unused:UNUSED_PAD src0_sel:DWORD src1_sel:BYTE_0
	v_mul_lo_u16 v53, v66, 14
	v_sub_nc_u16 v60, v11, v20
	v_lshlrev_b32_sdwa v20, v22, v59 dst_sel:DWORD dst_unused:UNUSED_PAD src0_sel:DWORD src1_sel:BYTE_0
	global_load_dword v57, v21, s[12:13] offset:28
	v_sub_nc_u16 v62, v13, v53
	global_load_dword v56, v20, s[12:13] offset:28
	v_lshlrev_b32_sdwa v21, v22, v60 dst_sel:DWORD dst_unused:UNUSED_PAD src0_sel:DWORD src1_sel:BYTE_0
	v_lshlrev_b32_sdwa v20, v22, v62 dst_sel:DWORD dst_unused:UNUSED_PAD src0_sel:DWORD src1_sel:BYTE_0
	s_clause 0x1
	global_load_dword v54, v21, s[12:13] offset:28
	global_load_dword v53, v20, s[12:13] offset:28
	ds_read_u16 v70, v24 offset:224
	ds_read_u16 v71, v24 offset:256
	;; [unrolled: 1-line block ×7, first 2 shown]
	ds_read_u16 v77, v0
	v_lshlrev_b64 v[20:21], 2, v[3:4]
	v_lshlrev_b32_e32 v4, 1, v18
	v_cndmask_b32_e64 v18, v68, v16, s0
	v_add_co_u32 v20, s0, s12, v20
	v_lshlrev_b64 v[68:69], 2, v[18:19]
	v_add_co_ci_u32_e64 v21, s0, s13, v21, s0
	v_add_co_u32 v68, s0, s12, v68
	v_add_co_ci_u32_e64 v69, s0, s13, v69, s0
	v_cmp_lt_u32_e64 s0, 13, v3
	s_waitcnt vmcnt(6) lgkmcnt(7)
	v_mul_f16_sdwa v78, v70, v52 dst_sel:DWORD dst_unused:UNUSED_PAD src0_sel:DWORD src1_sel:WORD_1
	v_fma_f16 v78, v48, v52, -v78
	v_mul_f16_sdwa v48, v48, v52 dst_sel:DWORD dst_unused:UNUSED_PAD src0_sel:DWORD src1_sel:WORD_1
	v_fmac_f16_e32 v48, v70, v52
	s_waitcnt vmcnt(5) lgkmcnt(6)
	v_mul_f16_sdwa v52, v71, v65 dst_sel:DWORD dst_unused:UNUSED_PAD src0_sel:DWORD src1_sel:WORD_1
	v_mul_f16_sdwa v70, v47, v65 dst_sel:DWORD dst_unused:UNUSED_PAD src0_sel:DWORD src1_sel:WORD_1
	v_fma_f16 v52, v47, v65, -v52
	v_fmac_f16_e32 v70, v71, v65
	s_waitcnt vmcnt(4) lgkmcnt(5)
	v_mul_f16_sdwa v47, v72, v67 dst_sel:DWORD dst_unused:UNUSED_PAD src0_sel:DWORD src1_sel:WORD_1
	v_mul_f16_sdwa v71, v46, v67 dst_sel:DWORD dst_unused:UNUSED_PAD src0_sel:DWORD src1_sel:WORD_1
	v_fma_f16 v65, v46, v67, -v47
	v_cndmask_b32_e64 v46, 0, 56, s0
	v_fmac_f16_e32 v71, v72, v67
	v_and_b32_e32 v47, 0xffff, v61
	v_and_b32_e32 v61, 0xffff, v66
	v_cmp_lt_u32_e64 s0, 27, v16
	v_add_nc_u32_e32 v46, 0, v46
	v_lshlrev_b64 v[16:17], 2, v[16:17]
	v_mad_u32_u24 v61, v61, 56, 0
	v_add3_u32 v67, v46, v4, v8
	v_lshrrev_b16 v4, 2, v32
	v_lshrrev_b16 v32, 2, v34
	v_mul_lo_u16 v4, v4, 37
	v_mul_lo_u16 v32, v32, 37
	v_lshrrev_b16 v34, 8, v4
	v_lshrrev_b16 v46, 8, v32
	;; [unrolled: 1-line block ×3, first 2 shown]
	v_and_b32_e32 v23, 0xffff, v49
	v_lshrrev_b16 v4, 8, v33
	v_and_b32_e32 v33, 0xffff, v51
	v_and_b32_e32 v49, 0xffff, v63
	;; [unrolled: 1-line block ×3, first 2 shown]
	v_mad_u32_u24 v23, v23, 56, 0
	v_mad_u32_u24 v63, v47, 56, 0
	;; [unrolled: 1-line block ×5, first 2 shown]
	v_add3_u32 v23, v23, v50, v8
	v_mul_lo_u16 v50, v32, 28
	v_mul_lo_u16 v46, v46, 28
	;; [unrolled: 1-line block ×3, first 2 shown]
	v_add3_u32 v55, v33, v55, v8
	v_mul_lo_u16 v33, v4, 28
	v_sub_nc_u16 v47, v7, v50
	v_lshlrev_b32_sdwa v50, v31, v58 dst_sel:DWORD dst_unused:UNUSED_PAD src0_sel:DWORD src1_sel:BYTE_0
	v_lshlrev_b32_sdwa v58, v31, v59 dst_sel:DWORD dst_unused:UNUSED_PAD src0_sel:DWORD src1_sel:BYTE_0
	;; [unrolled: 1-line block ×4, first 2 shown]
	v_sub_nc_u16 v66, v13, v46
	v_add3_u32 v62, v63, v50, v8
	v_add3_u32 v58, v49, v58, v8
	s_waitcnt vmcnt(3) lgkmcnt(4)
	v_mul_f16_sdwa v49, v73, v57 dst_sel:DWORD dst_unused:UNUSED_PAD src0_sel:DWORD src1_sel:WORD_1
	v_add3_u32 v51, v51, v59, v8
	v_mul_f16_sdwa v59, v45, v57 dst_sel:DWORD dst_unused:UNUSED_PAD src0_sel:DWORD src1_sel:WORD_1
	v_add3_u32 v60, v61, v60, v8
	s_waitcnt vmcnt(2) lgkmcnt(3)
	v_mul_f16_sdwa v50, v74, v56 dst_sel:DWORD dst_unused:UNUSED_PAD src0_sel:DWORD src1_sel:WORD_1
	v_mul_f16_sdwa v61, v44, v56 dst_sel:DWORD dst_unused:UNUSED_PAD src0_sel:DWORD src1_sel:WORD_1
	v_fma_f16 v45, v45, v57, -v49
	v_fmac_f16_e32 v59, v73, v57
	s_waitcnt vmcnt(1) lgkmcnt(2)
	v_mul_f16_sdwa v49, v75, v54 dst_sel:DWORD dst_unused:UNUSED_PAD src0_sel:DWORD src1_sel:WORD_1
	v_mul_f16_sdwa v57, v43, v54 dst_sel:DWORD dst_unused:UNUSED_PAD src0_sel:DWORD src1_sel:WORD_1
	v_fma_f16 v44, v44, v56, -v50
	s_waitcnt vmcnt(0) lgkmcnt(1)
	v_mul_f16_sdwa v50, v76, v53 dst_sel:DWORD dst_unused:UNUSED_PAD src0_sel:DWORD src1_sel:WORD_1
	v_fmac_f16_e32 v61, v74, v56
	v_mul_f16_sdwa v56, v42, v53 dst_sel:DWORD dst_unused:UNUSED_PAD src0_sel:DWORD src1_sel:WORD_1
	v_sub_nc_u16 v64, v9, v34
	v_sub_nc_u16 v34, v11, v33
	v_and_b32_e32 v33, 0xff, v66
	v_fma_f16 v43, v43, v54, -v49
	v_fmac_f16_e32 v57, v75, v54
	v_fma_f16 v42, v42, v53, -v50
	v_fmac_f16_e32 v56, v76, v53
	ds_read_u16 v53, v25
	ds_read_u16 v54, v26
	;; [unrolled: 1-line block ×6, first 2 shown]
	v_sub_f16_e32 v49, v41, v78
	v_sub_f16_e32 v50, v35, v52
	;; [unrolled: 1-line block ×7, first 2 shown]
	v_fma_f16 v41, v41, 2.0, -v49
	v_fma_f16 v35, v35, 2.0, -v50
	s_waitcnt lgkmcnt(6)
	v_sub_f16_e32 v65, v77, v48
	v_fma_f16 v36, v36, 2.0, -v52
	v_and_b32_e32 v46, 0xff, v64
	s_waitcnt lgkmcnt(0)
	s_barrier
	buffer_gl0_inv
	ds_write_b16 v67, v49 offset:28
	v_fma_f16 v37, v37, 2.0, -v45
	v_fma_f16 v38, v38, 2.0, -v44
	;; [unrolled: 1-line block ×4, first 2 shown]
	ds_write_b16 v67, v41
	ds_write_b16 v23, v35
	ds_write_b16 v23, v50 offset:28
	ds_write_b16 v55, v36
	ds_write_b16 v55, v52 offset:28
	;; [unrolled: 2-line block ×6, first 2 shown]
	v_sub_f16_e32 v52, v53, v70
	v_fma_f16 v75, v77, 2.0, -v65
	v_sub_f16_e32 v70, v54, v71
	v_sub_f16_e32 v59, v66, v59
	v_sub_f16_e32 v61, v72, v61
	v_sub_f16_e32 v57, v73, v57
	v_sub_f16_e32 v56, v74, v56
	v_lshlrev_b32_e32 v64, 2, v46
	v_fma_f16 v53, v53, 2.0, -v52
	v_lshlrev_b32_sdwa v63, v22, v47 dst_sel:DWORD dst_unused:UNUSED_PAD src0_sel:DWORD src1_sel:BYTE_0
	v_lshlrev_b32_sdwa v22, v22, v34 dst_sel:DWORD dst_unused:UNUSED_PAD src0_sel:DWORD src1_sel:BYTE_0
	s_waitcnt lgkmcnt(0)
	s_barrier
	buffer_gl0_inv
	ds_read_u16 v35, v25
	ds_read_u16 v36, v26
	;; [unrolled: 1-line block ×7, first 2 shown]
	ds_read_u16 v50, v24 offset:224
	ds_read_u16 v49, v24 offset:256
	;; [unrolled: 1-line block ×7, first 2 shown]
	s_waitcnt lgkmcnt(0)
	s_barrier
	buffer_gl0_inv
	ds_write_b16 v67, v75
	v_lshlrev_b32_e32 v75, 2, v33
	v_fma_f16 v54, v54, 2.0, -v70
	v_fma_f16 v66, v66, 2.0, -v59
	;; [unrolled: 1-line block ×5, first 2 shown]
	ds_write_b16 v67, v65 offset:28
	ds_write_b16 v23, v53
	ds_write_b16 v23, v52 offset:28
	ds_write_b16 v55, v54
	;; [unrolled: 2-line block ×6, first 2 shown]
	ds_write_b16 v60, v56 offset:28
	s_waitcnt lgkmcnt(0)
	s_barrier
	buffer_gl0_inv
	s_clause 0x6
	global_load_dword v54, v[20:21], off offset:84
	global_load_dword v53, v64, s[12:13] offset:84
	global_load_dword v52, v22, s[12:13] offset:84
	global_load_dword v51, v75, s[12:13] offset:84
	global_load_dword v57, v[68:69], off offset:84
	global_load_dword v58, v[20:21], off offset:100
	global_load_dword v59, v63, s[12:13] offset:84
	v_cndmask_b32_e64 v55, 0, 0x70, s0
	v_and_b32_e32 v4, 0xffff, v4
	v_lshlrev_b64 v[22:23], 2, v[14:15]
	v_add_co_u32 v15, s0, s12, v16
	v_add_nc_u32_e32 v14, 0, v55
	v_add_co_ci_u32_e64 v16, s0, s13, v17, s0
	v_and_b32_e32 v17, 0xffff, v32
	v_lshlrev_b32_e32 v32, 1, v18
	v_lshlrev_b32_sdwa v47, v31, v47 dst_sel:DWORD dst_unused:UNUSED_PAD src0_sel:DWORD src1_sel:BYTE_0
	v_mad_u32_u24 v4, 0x70, v4, 0
	v_lshlrev_b32_sdwa v31, v31, v34 dst_sel:DWORD dst_unused:UNUSED_PAD src0_sel:DWORD src1_sel:BYTE_0
	v_lshl_add_u32 v34, v46, 1, v10
	v_add3_u32 v14, v14, v32, v8
	ds_read_u16 v32, v24 offset:224
	ds_read_u16 v46, v24 offset:256
	v_add3_u32 v4, v4, v31, v8
	ds_read_u16 v31, v24 offset:288
	v_mad_u32_u24 v17, 0x70, v17, 0
	v_lshl_add_u32 v10, v33, 1, v10
	v_add_co_u32 v22, s0, s12, v22
	v_add_co_ci_u32_e64 v23, s0, s13, v23, s0
	v_add3_u32 v17, v17, v47, v8
	ds_read_u16 v33, v24 offset:320
	ds_read_u16 v47, v24 offset:352
	;; [unrolled: 1-line block ×4, first 2 shown]
	ds_read_u16 v62, v0
	ds_read_u16 v63, v25
	;; [unrolled: 1-line block ×7, first 2 shown]
	v_add_nc_u32_e32 v56, -8, v3
	v_cmp_gt_u32_e64 s0, 56, v7
	s_waitcnt vmcnt(0) lgkmcnt(0)
	s_barrier
	buffer_gl0_inv
	v_cndmask_b32_e64 v18, v56, v7, s0
	v_lshlrev_b64 v[55:56], 2, v[18:19]
	v_lshlrev_b32_e32 v18, 1, v18
	v_mul_f16_sdwa v69, v32, v54 dst_sel:DWORD dst_unused:UNUSED_PAD src0_sel:DWORD src1_sel:WORD_1
	v_mul_f16_sdwa v70, v50, v54 dst_sel:DWORD dst_unused:UNUSED_PAD src0_sel:DWORD src1_sel:WORD_1
	v_mul_f16_sdwa v72, v49, v57 dst_sel:DWORD dst_unused:UNUSED_PAD src0_sel:DWORD src1_sel:WORD_1
	v_mul_f16_sdwa v73, v31, v58 dst_sel:DWORD dst_unused:UNUSED_PAD src0_sel:DWORD src1_sel:WORD_1
	v_mul_f16_sdwa v71, v46, v57 dst_sel:DWORD dst_unused:UNUSED_PAD src0_sel:DWORD src1_sel:WORD_1
	v_mul_f16_sdwa v74, v48, v58 dst_sel:DWORD dst_unused:UNUSED_PAD src0_sel:DWORD src1_sel:WORD_1
	v_fma_f16 v50, v50, v54, -v69
	v_mul_f16_sdwa v69, v33, v59 dst_sel:DWORD dst_unused:UNUSED_PAD src0_sel:DWORD src1_sel:WORD_1
	v_fmac_f16_e32 v70, v32, v54
	v_mul_f16_sdwa v32, v45, v59 dst_sel:DWORD dst_unused:UNUSED_PAD src0_sel:DWORD src1_sel:WORD_1
	v_mul_f16_sdwa v54, v47, v53 dst_sel:DWORD dst_unused:UNUSED_PAD src0_sel:DWORD src1_sel:WORD_1
	v_fmac_f16_e32 v72, v46, v57
	v_mul_f16_sdwa v46, v60, v52 dst_sel:DWORD dst_unused:UNUSED_PAD src0_sel:DWORD src1_sel:WORD_1
	v_fma_f16 v48, v48, v58, -v73
	v_mul_f16_sdwa v73, v61, v51 dst_sel:DWORD dst_unused:UNUSED_PAD src0_sel:DWORD src1_sel:WORD_1
	v_fma_f16 v49, v49, v57, -v71
	v_mul_f16_sdwa v71, v44, v53 dst_sel:DWORD dst_unused:UNUSED_PAD src0_sel:DWORD src1_sel:WORD_1
	v_mul_f16_sdwa v57, v43, v52 dst_sel:DWORD dst_unused:UNUSED_PAD src0_sel:DWORD src1_sel:WORD_1
	v_fmac_f16_e32 v74, v31, v58
	v_mul_f16_sdwa v31, v42, v51 dst_sel:DWORD dst_unused:UNUSED_PAD src0_sel:DWORD src1_sel:WORD_1
	v_fma_f16 v45, v45, v59, -v69
	v_fmac_f16_e32 v32, v33, v59
	v_fma_f16 v33, v44, v53, -v54
	v_fma_f16 v43, v43, v52, -v46
	;; [unrolled: 1-line block ×3, first 2 shown]
	v_fmac_f16_e32 v71, v47, v53
	v_fmac_f16_e32 v57, v60, v52
	;; [unrolled: 1-line block ×3, first 2 shown]
	v_sub_f16_e32 v44, v41, v50
	v_sub_f16_e32 v46, v62, v70
	;; [unrolled: 1-line block ×14, first 2 shown]
	v_fma_f16 v41, v41, 2.0, -v44
	ds_write_b16 v24, v44 offset:56
	v_fma_f16 v44, v62, 2.0, -v46
	v_fma_f16 v35, v35, 2.0, -v47
	;; [unrolled: 1-line block ×13, first 2 shown]
	ds_write_b16 v24, v41
	ds_write_b16 v14, v35
	ds_write_b16 v14, v47 offset:56
	ds_write_b16 v12, v36 offset:120
	ds_write_b16 v12, v48 offset:176
	ds_write_b16 v17, v37
	ds_write_b16 v17, v45 offset:56
	ds_write_b16 v34, v38 offset:224
	ds_write_b16 v34, v33 offset:280
	;; [unrolled: 4-line block ×3, first 2 shown]
	s_waitcnt lgkmcnt(0)
	s_barrier
	buffer_gl0_inv
	ds_read_u16 v33, v25
	ds_read_u16 v35, v26
	;; [unrolled: 1-line block ×7, first 2 shown]
	ds_read_u16 v41, v24 offset:224
	ds_read_u16 v42, v24 offset:256
	;; [unrolled: 1-line block ×7, first 2 shown]
	s_waitcnt lgkmcnt(0)
	s_barrier
	buffer_gl0_inv
	ds_write_b16 v24, v44
	ds_write_b16 v24, v46 offset:56
	ds_write_b16 v14, v53
	ds_write_b16 v14, v49 offset:56
	ds_write_b16 v12, v54 offset:120
	ds_write_b16 v12, v50 offset:176
	ds_write_b16 v17, v57
	ds_write_b16 v17, v32 offset:56
	ds_write_b16 v34, v58 offset:224
	;; [unrolled: 4-line block ×3, first 2 shown]
	ds_write_b16 v10, v31 offset:392
	v_add_co_u32 v31, s0, s12, v55
	s_waitcnt lgkmcnt(0)
	s_barrier
	buffer_gl0_inv
	global_load_dword v4, v[20:21], off offset:196
	v_add_co_ci_u32_e64 v32, s0, s13, v56, s0
	s_clause 0x5
	global_load_dword v10, v[15:16], off offset:196
	global_load_dword v14, v[22:23], off offset:196
	;; [unrolled: 1-line block ×6, first 2 shown]
	v_cmp_lt_u32_e64 s0, 55, v7
	ds_read_u16 v46, v24 offset:224
	ds_read_u16 v49, v24 offset:256
	;; [unrolled: 1-line block ×3, first 2 shown]
	v_cndmask_b32_e64 v44, 0, 0xe0, s0
	v_add_nc_u32_e32 v44, 0, v44
	v_add3_u32 v8, v44, v18, v8
	ds_read_u16 v18, v24 offset:320
	ds_read_u16 v44, v24 offset:352
	;; [unrolled: 1-line block ×4, first 2 shown]
	ds_read_u16 v53, v0
	ds_read_u16 v54, v25
	;; [unrolled: 1-line block ×7, first 2 shown]
	s_waitcnt vmcnt(0) lgkmcnt(0)
	s_barrier
	buffer_gl0_inv
	v_mul_f16_sdwa v63, v49, v10 dst_sel:DWORD dst_unused:UNUSED_PAD src0_sel:DWORD src1_sel:WORD_1
	v_mul_f16_sdwa v60, v46, v4 dst_sel:DWORD dst_unused:UNUSED_PAD src0_sel:DWORD src1_sel:WORD_1
	v_mul_f16_sdwa v62, v41, v4 dst_sel:DWORD dst_unused:UNUSED_PAD src0_sel:DWORD src1_sel:WORD_1
	v_mul_f16_sdwa v64, v42, v10 dst_sel:DWORD dst_unused:UNUSED_PAD src0_sel:DWORD src1_sel:WORD_1
	v_mul_f16_sdwa v65, v50, v14 dst_sel:DWORD dst_unused:UNUSED_PAD src0_sel:DWORD src1_sel:WORD_1
	v_mul_f16_sdwa v66, v43, v14 dst_sel:DWORD dst_unused:UNUSED_PAD src0_sel:DWORD src1_sel:WORD_1
	v_mul_f16_sdwa v67, v18, v17 dst_sel:DWORD dst_unused:UNUSED_PAD src0_sel:DWORD src1_sel:WORD_1
	v_mul_f16_sdwa v68, v45, v17 dst_sel:DWORD dst_unused:UNUSED_PAD src0_sel:DWORD src1_sel:WORD_1
	v_mul_f16_sdwa v69, v44, v31 dst_sel:DWORD dst_unused:UNUSED_PAD src0_sel:DWORD src1_sel:WORD_1
	v_mul_f16_sdwa v70, v47, v31 dst_sel:DWORD dst_unused:UNUSED_PAD src0_sel:DWORD src1_sel:WORD_1
	v_mul_f16_sdwa v71, v51, v32 dst_sel:DWORD dst_unused:UNUSED_PAD src0_sel:DWORD src1_sel:WORD_1
	v_mul_f16_sdwa v73, v52, v34 dst_sel:DWORD dst_unused:UNUSED_PAD src0_sel:DWORD src1_sel:WORD_1
	v_mul_f16_sdwa v72, v48, v32 dst_sel:DWORD dst_unused:UNUSED_PAD src0_sel:DWORD src1_sel:WORD_1
	v_fma_f16 v41, v41, v4, -v60
	v_fmac_f16_e32 v62, v46, v4
	v_fma_f16 v4, v42, v10, -v63
	v_fmac_f16_e32 v64, v49, v10
	;; [unrolled: 2-line block ×5, first 2 shown]
	v_fma_f16 v18, v48, v32, -v71
	v_fma_f16 v31, v61, v34, -v73
	v_mul_f16_sdwa v60, v61, v34 dst_sel:DWORD dst_unused:UNUSED_PAD src0_sel:DWORD src1_sel:WORD_1
	v_fmac_f16_e32 v72, v51, v32
	v_sub_f16_e32 v32, v40, v41
	v_sub_f16_e32 v4, v33, v4
	;; [unrolled: 1-line block ×7, first 2 shown]
	v_fmac_f16_e32 v60, v52, v34
	v_fma_f16 v34, v40, 2.0, -v32
	v_fma_f16 v33, v33, 2.0, -v4
	;; [unrolled: 1-line block ×7, first 2 shown]
	ds_write_b16 v24, v32 offset:112
	ds_write_b16 v24, v34
	ds_write_b16 v25, v33
	ds_write_b16 v25, v4 offset:112
	ds_write_b16 v26, v35
	ds_write_b16 v26, v10 offset:112
	;; [unrolled: 2-line block ×3, first 2 shown]
	ds_write_b16 v12, v37 offset:240
	ds_write_b16 v12, v17 offset:352
	;; [unrolled: 1-line block ×6, first 2 shown]
	s_waitcnt lgkmcnt(0)
	s_barrier
	buffer_gl0_inv
	ds_read_u16 v4, v25
	ds_read_u16 v17, v26
	;; [unrolled: 1-line block ×7, first 2 shown]
	ds_read_u16 v36, v24 offset:224
	ds_read_u16 v37, v24 offset:256
	;; [unrolled: 1-line block ×7, first 2 shown]
	v_sub_f16_e32 v43, v53, v62
	v_sub_f16_e32 v44, v54, v64
	;; [unrolled: 1-line block ×7, first 2 shown]
	v_fma_f16 v50, v53, 2.0, -v43
	v_fma_f16 v51, v54, 2.0, -v44
	;; [unrolled: 1-line block ×7, first 2 shown]
	s_waitcnt lgkmcnt(0)
	s_barrier
	buffer_gl0_inv
	ds_write_b16 v24, v50
	ds_write_b16 v24, v43 offset:112
	ds_write_b16 v25, v51
	ds_write_b16 v25, v44 offset:112
	;; [unrolled: 2-line block ×4, first 2 shown]
	ds_write_b16 v12, v54 offset:240
	ds_write_b16 v12, v47 offset:352
	;; [unrolled: 1-line block ×6, first 2 shown]
	s_waitcnt lgkmcnt(0)
	s_barrier
	buffer_gl0_inv
	s_and_saveexec_b32 s0, vcc_lo
	s_cbranch_execz .LBB0_15
; %bb.14:
	v_mov_b32_e32 v14, v19
	v_mov_b32_e32 v12, v19
	;; [unrolled: 1-line block ×4, first 2 shown]
	v_lshlrev_b64 v[13:14], 2, v[13:14]
	v_lshlrev_b64 v[11:12], 2, v[11:12]
	;; [unrolled: 1-line block ×4, first 2 shown]
	v_add_co_u32 v13, vcc_lo, s12, v13
	v_add_co_ci_u32_e32 v14, vcc_lo, s13, v14, vcc_lo
	v_add_co_u32 v11, vcc_lo, s12, v11
	v_add_co_ci_u32_e32 v12, vcc_lo, s13, v12, vcc_lo
	;; [unrolled: 2-line block ×4, first 2 shown]
	s_clause 0x6
	global_load_dword v45, v[13:14], off offset:420
	global_load_dword v46, v[11:12], off offset:420
	;; [unrolled: 1-line block ×7, first 2 shown]
	v_mul_lo_u32 v7, s3, v5
	v_mul_lo_u32 v8, s2, v6
	v_mad_u64_u32 v[5:6], null, s2, v5, 0
	ds_read_u16 v30, v30
	ds_read_u16 v52, v29
	;; [unrolled: 1-line block ×6, first 2 shown]
	ds_read_u16 v57, v24 offset:416
	ds_read_u16 v58, v24 offset:384
	;; [unrolled: 1-line block ×7, first 2 shown]
	ds_read_u16 v64, v0
	v_lshlrev_b64 v[0:1], 2, v[1:2]
	v_add_nc_u32_e32 v2, 16, v3
	v_add_nc_u32_e32 v10, 32, v3
	;; [unrolled: 1-line block ×3, first 2 shown]
	v_lshrrev_b32_e32 v9, 4, v3
	v_add_nc_u32_e32 v12, 64, v3
	v_lshrrev_b32_e32 v15, 4, v2
	v_lshrrev_b32_e32 v16, 4, v10
	;; [unrolled: 1-line block ×3, first 2 shown]
	v_add3_u32 v6, v6, v8, v7
	v_mul_hi_u32 v9, 0x24924925, v9
	v_mul_hi_u32 v15, 0x24924925, v15
	;; [unrolled: 1-line block ×3, first 2 shown]
	v_lshrrev_b32_e32 v20, 4, v12
	v_add_nc_u32_e32 v13, 0x50, v3
	v_add_nc_u32_e32 v14, 0x60, v3
	v_mul_hi_u32 v18, 0x24924925, v18
	v_lshlrev_b64 v[5:6], 2, v[5:6]
	v_mul_hi_u32 v20, 0x24924925, v20
	v_lshrrev_b32_e32 v21, 4, v13
	v_lshrrev_b32_e32 v22, 4, v14
	v_mul_lo_u32 v7, 0x70, v9
	v_mul_lo_u32 v8, 0x70, v15
	;; [unrolled: 1-line block ×3, first 2 shown]
	v_add_co_u32 v5, vcc_lo, s10, v5
	v_mul_lo_u32 v23, 0x70, v18
	v_add_co_ci_u32_e32 v6, vcc_lo, s11, v6, vcc_lo
	v_mul_hi_u32 v21, 0x24924925, v21
	v_mul_hi_u32 v22, 0x24924925, v22
	v_mul_lo_u32 v24, 0x70, v20
	v_add_co_u32 v65, vcc_lo, v5, v0
	v_add_co_ci_u32_e32 v66, vcc_lo, v6, v1, vcc_lo
	v_sub_nc_u32_e32 v0, v2, v8
	v_sub_nc_u32_e32 v1, v10, v9
	;; [unrolled: 1-line block ×4, first 2 shown]
	v_mul_lo_u32 v25, 0x70, v21
	v_mul_lo_u32 v26, 0x70, v22
	v_mad_u64_u32 v[9:10], null, 0xe0, v15, v[0:1]
	v_lshlrev_b32_e32 v7, 2, v3
	v_sub_nc_u32_e32 v3, v12, v24
	v_mad_u64_u32 v[0:1], null, 0xe0, v16, v[1:2]
	v_mov_b32_e32 v10, v19
	v_mov_b32_e32 v1, v19
	v_mad_u64_u32 v[11:12], null, 0xe0, v18, v[2:3]
	v_sub_nc_u32_e32 v5, v13, v25
	v_sub_nc_u32_e32 v6, v14, v26
	v_lshlrev_b64 v[15:16], 2, v[9:10]
	v_mad_u64_u32 v[2:3], null, 0xe0, v20, v[3:4]
	v_mov_b32_e32 v12, v19
	v_add_nc_u32_e32 v18, 0x70, v9
	v_add_co_u32 v7, vcc_lo, v65, v7
	v_lshlrev_b64 v[9:10], 2, v[0:1]
	v_mad_u64_u32 v[13:14], null, 0xe0, v21, v[5:6]
	v_mov_b32_e32 v3, v19
	v_add_co_ci_u32_e32 v8, vcc_lo, 0, v66, vcc_lo
	v_lshlrev_b64 v[20:21], 2, v[11:12]
	v_lshlrev_b64 v[28:29], 2, v[18:19]
	v_add_nc_u32_e32 v18, 0x70, v0
	v_add_co_u32 v0, vcc_lo, v65, v15
	v_mad_u64_u32 v[5:6], null, 0xe0, v22, v[6:7]
	v_mov_b32_e32 v14, v19
	v_add_co_ci_u32_e32 v1, vcc_lo, v66, v16, vcc_lo
	v_lshlrev_b64 v[22:23], 2, v[2:3]
	v_add_co_u32 v9, vcc_lo, v65, v9
	v_mov_b32_e32 v6, v19
	v_add_co_ci_u32_e32 v10, vcc_lo, v66, v10, vcc_lo
	v_lshlrev_b64 v[24:25], 2, v[13:14]
	v_add_co_u32 v14, vcc_lo, v65, v20
	v_add_co_ci_u32_e32 v15, vcc_lo, v66, v21, vcc_lo
	v_lshlrev_b64 v[26:27], 2, v[5:6]
	v_add_co_u32 v20, vcc_lo, v65, v22
	v_add_co_ci_u32_e32 v21, vcc_lo, v66, v23, vcc_lo
	v_add_co_u32 v22, vcc_lo, v65, v24
	v_add_co_ci_u32_e32 v23, vcc_lo, v66, v25, vcc_lo
	;; [unrolled: 2-line block ×3, first 2 shown]
	v_lshlrev_b64 v[26:27], 2, v[18:19]
	v_add_nc_u32_e32 v18, 0x70, v11
	v_add_co_u32 v11, vcc_lo, v65, v28
	v_add_co_ci_u32_e32 v12, vcc_lo, v66, v29, vcc_lo
	v_lshlrev_b64 v[28:29], 2, v[18:19]
	v_add_nc_u32_e32 v18, 0x70, v2
	v_add_co_u32 v2, vcc_lo, v65, v26
	v_add_co_ci_u32_e32 v3, vcc_lo, v66, v27, vcc_lo
	;; [unrolled: 4-line block ×4, first 2 shown]
	v_lshlrev_b64 v[18:19], 2, v[18:19]
	v_add_co_u32 v26, vcc_lo, v65, v43
	v_add_co_ci_u32_e32 v27, vcc_lo, v66, v44, vcc_lo
	v_add_co_u32 v18, vcc_lo, v65, v18
	v_add_co_ci_u32_e32 v19, vcc_lo, v66, v19, vcc_lo
	s_waitcnt vmcnt(5)
	v_mul_f16_sdwa v44, v41, v46 dst_sel:DWORD dst_unused:UNUSED_PAD src0_sel:DWORD src1_sel:WORD_1
	s_waitcnt vmcnt(4)
	v_mul_f16_sdwa v66, v40, v47 dst_sel:DWORD dst_unused:UNUSED_PAD src0_sel:DWORD src1_sel:WORD_1
	s_waitcnt lgkmcnt(6)
	v_mul_f16_sdwa v43, v58, v46 dst_sel:DWORD dst_unused:UNUSED_PAD src0_sel:DWORD src1_sel:WORD_1
	s_waitcnt vmcnt(2) lgkmcnt(3)
	v_mul_f16_sdwa v69, v61, v49 dst_sel:DWORD dst_unused:UNUSED_PAD src0_sel:DWORD src1_sel:WORD_1
	s_waitcnt vmcnt(1) lgkmcnt(2)
	;; [unrolled: 2-line block ×3, first 2 shown]
	v_mul_f16_sdwa v73, v63, v51 dst_sel:DWORD dst_unused:UNUSED_PAD src0_sel:DWORD src1_sel:WORD_1
	v_mul_f16_sdwa v74, v36, v51 dst_sel:DWORD dst_unused:UNUSED_PAD src0_sel:DWORD src1_sel:WORD_1
	;; [unrolled: 1-line block ×9, first 2 shown]
	v_fmac_f16_e32 v66, v47, v59
	v_fma_f16 v36, v36, v51, -v73
	v_fmac_f16_e32 v74, v51, v63
	v_fmac_f16_e32 v44, v46, v58
	v_fma_f16 v37, v37, v50, -v71
	v_fmac_f16_e32 v72, v50, v62
	v_fma_f16 v38, v38, v49, -v69
	;; [unrolled: 2-line block ×4, first 2 shown]
	v_fma_f16 v40, v40, v47, -v65
	v_fma_f16 v39, v39, v48, -v67
	v_fmac_f16_e32 v68, v48, v60
	v_sub_f16_e32 v43, v53, v66
	v_sub_f16_e32 v36, v32, v36
	s_waitcnt lgkmcnt(0)
	v_sub_f16_e32 v47, v64, v74
	v_sub_f16_e32 v42, v52, v44
	;; [unrolled: 1-line block ×12, first 2 shown]
	v_fma_f16 v49, v53, 2.0, -v43
	v_fma_f16 v32, v32, 2.0, -v36
	;; [unrolled: 1-line block ×14, first 2 shown]
	v_pack_b32_f16 v36, v36, v47
	v_pack_b32_f16 v13, v13, v16
	;; [unrolled: 1-line block ×10, first 2 shown]
	global_store_dword v[7:8], v36, off offset:448
	v_pack_b32_f16 v31, v31, v50
	v_pack_b32_f16 v32, v33, v49
	;; [unrolled: 1-line block ×4, first 2 shown]
	global_store_dword v[7:8], v16, off
	global_store_dword v[0:1], v4, off
	;; [unrolled: 1-line block ×13, first 2 shown]
.LBB0_15:
	s_endpgm
	.section	.rodata,"a",@progbits
	.p2align	6, 0x0
	.amdhsa_kernel fft_rtc_fwd_len224_factors_7_2_2_2_2_2_wgs_64_tpt_16_halfLds_half_op_CI_CI_unitstride_sbrr_dirReg
		.amdhsa_group_segment_fixed_size 0
		.amdhsa_private_segment_fixed_size 0
		.amdhsa_kernarg_size 104
		.amdhsa_user_sgpr_count 6
		.amdhsa_user_sgpr_private_segment_buffer 1
		.amdhsa_user_sgpr_dispatch_ptr 0
		.amdhsa_user_sgpr_queue_ptr 0
		.amdhsa_user_sgpr_kernarg_segment_ptr 1
		.amdhsa_user_sgpr_dispatch_id 0
		.amdhsa_user_sgpr_flat_scratch_init 0
		.amdhsa_user_sgpr_private_segment_size 0
		.amdhsa_wavefront_size32 1
		.amdhsa_uses_dynamic_stack 0
		.amdhsa_system_sgpr_private_segment_wavefront_offset 0
		.amdhsa_system_sgpr_workgroup_id_x 1
		.amdhsa_system_sgpr_workgroup_id_y 0
		.amdhsa_system_sgpr_workgroup_id_z 0
		.amdhsa_system_sgpr_workgroup_info 0
		.amdhsa_system_vgpr_workitem_id 0
		.amdhsa_next_free_vgpr 79
		.amdhsa_next_free_sgpr 27
		.amdhsa_reserve_vcc 1
		.amdhsa_reserve_flat_scratch 0
		.amdhsa_float_round_mode_32 0
		.amdhsa_float_round_mode_16_64 0
		.amdhsa_float_denorm_mode_32 3
		.amdhsa_float_denorm_mode_16_64 3
		.amdhsa_dx10_clamp 1
		.amdhsa_ieee_mode 1
		.amdhsa_fp16_overflow 0
		.amdhsa_workgroup_processor_mode 1
		.amdhsa_memory_ordered 1
		.amdhsa_forward_progress 0
		.amdhsa_shared_vgpr_count 0
		.amdhsa_exception_fp_ieee_invalid_op 0
		.amdhsa_exception_fp_denorm_src 0
		.amdhsa_exception_fp_ieee_div_zero 0
		.amdhsa_exception_fp_ieee_overflow 0
		.amdhsa_exception_fp_ieee_underflow 0
		.amdhsa_exception_fp_ieee_inexact 0
		.amdhsa_exception_int_div_zero 0
	.end_amdhsa_kernel
	.text
.Lfunc_end0:
	.size	fft_rtc_fwd_len224_factors_7_2_2_2_2_2_wgs_64_tpt_16_halfLds_half_op_CI_CI_unitstride_sbrr_dirReg, .Lfunc_end0-fft_rtc_fwd_len224_factors_7_2_2_2_2_2_wgs_64_tpt_16_halfLds_half_op_CI_CI_unitstride_sbrr_dirReg
                                        ; -- End function
	.section	.AMDGPU.csdata,"",@progbits
; Kernel info:
; codeLenInByte = 10532
; NumSgprs: 29
; NumVgprs: 79
; ScratchSize: 0
; MemoryBound: 0
; FloatMode: 240
; IeeeMode: 1
; LDSByteSize: 0 bytes/workgroup (compile time only)
; SGPRBlocks: 3
; VGPRBlocks: 9
; NumSGPRsForWavesPerEU: 29
; NumVGPRsForWavesPerEU: 79
; Occupancy: 12
; WaveLimiterHint : 1
; COMPUTE_PGM_RSRC2:SCRATCH_EN: 0
; COMPUTE_PGM_RSRC2:USER_SGPR: 6
; COMPUTE_PGM_RSRC2:TRAP_HANDLER: 0
; COMPUTE_PGM_RSRC2:TGID_X_EN: 1
; COMPUTE_PGM_RSRC2:TGID_Y_EN: 0
; COMPUTE_PGM_RSRC2:TGID_Z_EN: 0
; COMPUTE_PGM_RSRC2:TIDIG_COMP_CNT: 0
	.text
	.p2alignl 6, 3214868480
	.fill 48, 4, 3214868480
	.type	__hip_cuid_9bd52e21d64bc432,@object ; @__hip_cuid_9bd52e21d64bc432
	.section	.bss,"aw",@nobits
	.globl	__hip_cuid_9bd52e21d64bc432
__hip_cuid_9bd52e21d64bc432:
	.byte	0                               ; 0x0
	.size	__hip_cuid_9bd52e21d64bc432, 1

	.ident	"AMD clang version 19.0.0git (https://github.com/RadeonOpenCompute/llvm-project roc-6.4.0 25133 c7fe45cf4b819c5991fe208aaa96edf142730f1d)"
	.section	".note.GNU-stack","",@progbits
	.addrsig
	.addrsig_sym __hip_cuid_9bd52e21d64bc432
	.amdgpu_metadata
---
amdhsa.kernels:
  - .args:
      - .actual_access:  read_only
        .address_space:  global
        .offset:         0
        .size:           8
        .value_kind:     global_buffer
      - .offset:         8
        .size:           8
        .value_kind:     by_value
      - .actual_access:  read_only
        .address_space:  global
        .offset:         16
        .size:           8
        .value_kind:     global_buffer
      - .actual_access:  read_only
        .address_space:  global
        .offset:         24
        .size:           8
        .value_kind:     global_buffer
      - .actual_access:  read_only
        .address_space:  global
        .offset:         32
        .size:           8
        .value_kind:     global_buffer
      - .offset:         40
        .size:           8
        .value_kind:     by_value
      - .actual_access:  read_only
        .address_space:  global
        .offset:         48
        .size:           8
        .value_kind:     global_buffer
      - .actual_access:  read_only
        .address_space:  global
        .offset:         56
        .size:           8
        .value_kind:     global_buffer
      - .offset:         64
        .size:           4
        .value_kind:     by_value
      - .actual_access:  read_only
        .address_space:  global
        .offset:         72
        .size:           8
        .value_kind:     global_buffer
      - .actual_access:  read_only
        .address_space:  global
        .offset:         80
        .size:           8
        .value_kind:     global_buffer
      - .actual_access:  read_only
        .address_space:  global
        .offset:         88
        .size:           8
        .value_kind:     global_buffer
      - .actual_access:  write_only
        .address_space:  global
        .offset:         96
        .size:           8
        .value_kind:     global_buffer
    .group_segment_fixed_size: 0
    .kernarg_segment_align: 8
    .kernarg_segment_size: 104
    .language:       OpenCL C
    .language_version:
      - 2
      - 0
    .max_flat_workgroup_size: 64
    .name:           fft_rtc_fwd_len224_factors_7_2_2_2_2_2_wgs_64_tpt_16_halfLds_half_op_CI_CI_unitstride_sbrr_dirReg
    .private_segment_fixed_size: 0
    .sgpr_count:     29
    .sgpr_spill_count: 0
    .symbol:         fft_rtc_fwd_len224_factors_7_2_2_2_2_2_wgs_64_tpt_16_halfLds_half_op_CI_CI_unitstride_sbrr_dirReg.kd
    .uniform_work_group_size: 1
    .uses_dynamic_stack: false
    .vgpr_count:     79
    .vgpr_spill_count: 0
    .wavefront_size: 32
    .workgroup_processor_mode: 1
amdhsa.target:   amdgcn-amd-amdhsa--gfx1030
amdhsa.version:
  - 1
  - 2
...

	.end_amdgpu_metadata
